;; amdgpu-corpus repo=ROCm/rocFFT kind=compiled arch=gfx950 opt=O3
	.text
	.amdgcn_target "amdgcn-amd-amdhsa--gfx950"
	.amdhsa_code_object_version 6
	.protected	fft_rtc_back_len80_factors_10_8_wgs_160_tpt_10_dp_op_CI_CI_sbcc_twdbase6_3step_dirReg ; -- Begin function fft_rtc_back_len80_factors_10_8_wgs_160_tpt_10_dp_op_CI_CI_sbcc_twdbase6_3step_dirReg
	.globl	fft_rtc_back_len80_factors_10_8_wgs_160_tpt_10_dp_op_CI_CI_sbcc_twdbase6_3step_dirReg
	.p2align	8
	.type	fft_rtc_back_len80_factors_10_8_wgs_160_tpt_10_dp_op_CI_CI_sbcc_twdbase6_3step_dirReg,@function
fft_rtc_back_len80_factors_10_8_wgs_160_tpt_10_dp_op_CI_CI_sbcc_twdbase6_3step_dirReg: ; @fft_rtc_back_len80_factors_10_8_wgs_160_tpt_10_dp_op_CI_CI_sbcc_twdbase6_3step_dirReg
; %bb.0:
	s_load_dwordx2 s[22:23], s[0:1], 0x0
	s_load_dwordx8 s[4:11], s[0:1], 0x8
	s_load_dwordx2 s[20:21], s[0:1], 0x68
	s_load_dwordx2 s[30:31], s[0:1], 0x28
	s_movk_i32 s3, 0xc0
	v_cmp_gt_u32_e32 vcc, s3, v0
	s_and_saveexec_b64 s[12:13], vcc
	s_cbranch_execz .LBB0_3
; %bb.1:
	s_movk_i32 s14, 0xff60
	v_mov_b32_e32 v1, 0
	s_mov_b32 s15, -1
	v_lshlrev_b32_e32 v6, 4, v0
	v_lshl_add_u64 v[2:3], v[0:1], 0, s[14:15]
	v_mov_b32_e32 v7, v1
	v_add_u32_e32 v1, 0, v6
	s_waitcnt lgkmcnt(0)
	v_lshl_add_u64 v[4:5], s[4:5], 0, v[6:7]
	v_add_u32_e32 v1, 0x5000, v1
	s_mov_b64 s[4:5], 0
	s_mov_b64 s[14:15], 0xa0
	;; [unrolled: 1-line block ×3, first 2 shown]
.LBB0_2:                                ; =>This Inner Loop Header: Depth=1
	global_load_dwordx4 v[6:9], v[4:5], off
	v_lshl_add_u64 v[2:3], v[2:3], 0, s[14:15]
	v_cmp_lt_u64_e32 vcc, 31, v[2:3]
	v_lshl_add_u64 v[4:5], v[4:5], 0, s[16:17]
	s_or_b64 s[4:5], vcc, s[4:5]
	s_waitcnt vmcnt(0)
	ds_write2_b64 v1, v[6:7], v[8:9] offset1:1
	v_add_u32_e32 v1, 0xa00, v1
	s_andn2_b64 exec, exec, s[4:5]
	s_cbranch_execnz .LBB0_2
.LBB0_3:
	s_or_b64 exec, exec, s[12:13]
	s_load_dwordx2 s[24:25], s[0:1], 0x60
	s_waitcnt lgkmcnt(0)
	s_load_dwordx2 s[26:27], s[8:9], 0x8
	s_mov_b32 s3, 0
	s_mov_b64 s[4:5], 0
	s_waitcnt lgkmcnt(0)
	s_add_u32 s0, s26, -1
	s_addc_u32 s1, s27, -1
	s_lshr_b64 s[0:1], s[0:1], 4
	s_add_u32 s34, s0, 1
	s_addc_u32 s35, s1, 0
	v_mov_b64_e32 v[2:3], s[34:35]
	v_cmp_lt_u64_e32 vcc, s[2:3], v[2:3]
	s_cbranch_vccnz .LBB0_5
; %bb.4:
	v_cvt_f32_u32_e32 v1, s34
	s_sub_i32 s0, 0, s34
	v_rcp_iflag_f32_e32 v1, v1
	s_nop 0
	v_mul_f32_e32 v1, 0x4f7ffffe, v1
	v_cvt_u32_f32_e32 v1, v1
	s_nop 0
	v_readfirstlane_b32 s1, v1
	s_mul_i32 s0, s0, s1
	s_mul_hi_u32 s0, s1, s0
	s_add_i32 s1, s1, s0
	s_mul_hi_u32 s0, s2, s1
	s_mul_i32 s4, s0, s34
	s_sub_i32 s4, s2, s4
	s_add_i32 s1, s0, 1
	s_sub_i32 s5, s4, s34
	s_cmp_ge_u32 s4, s34
	s_cselect_b32 s0, s1, s0
	s_cselect_b32 s4, s5, s4
	s_add_i32 s1, s0, 1
	s_cmp_ge_u32 s4, s34
	s_cselect_b32 s4, s1, s0
	s_mov_b32 s5, s3
.LBB0_5:
	s_mul_i32 s0, s4, s35
	s_mul_hi_u32 s1, s4, s34
	s_load_dwordx4 s[16:19], s[10:11], 0x0
	s_load_dwordx4 s[12:15], s[30:31], 0x0
	s_add_i32 s1, s1, s0
	s_mul_i32 s0, s4, s34
	s_sub_u32 s0, s2, s0
	s_subb_u32 s1, 0, s1
	v_mov_b32_e32 v1, s0
	s_lshl_b64 s[28:29], s[0:1], 4
	v_alignbit_b32 v1, s1, v1, 28
	s_waitcnt lgkmcnt(0)
	v_mul_lo_u32 v2, s18, v1
	s_mul_hi_u32 s0, s18, s28
	v_add_u32_e32 v2, s0, v2
	s_mul_i32 s0, s19, s28
	v_add_u32_e32 v3, s0, v2
	s_mul_i32 s0, s18, s28
	v_mov_b32_e32 v2, s0
	v_mul_lo_u32 v1, s14, v1
	s_mul_hi_u32 s0, s14, s28
	v_add_u32_e32 v1, s0, v1
	s_mul_i32 s0, s15, s28
	v_add_u32_e32 v43, s0, v1
	s_mul_i32 s0, s14, s28
	v_mov_b32_e32 v42, s0
	v_cmp_lt_u64_e64 s[0:1], s[6:7], 3
	s_and_b64 vcc, exec, s[0:1]
	s_cbranch_vccnz .LBB0_14
; %bb.6:
	s_add_u32 s36, s30, 16
	s_addc_u32 s37, s31, 0
	s_add_u32 s38, s10, 16
	s_addc_u32 s39, s11, 0
	;; [unrolled: 2-line block ×3, first 2 shown]
	s_mov_b64 s[40:41], 2
	s_mov_b32 s42, 0
	v_mov_b64_e32 v[4:5], s[6:7]
	s_branch .LBB0_8
.LBB0_7:                                ;   in Loop: Header=BB0_8 Depth=1
	s_mul_i32 s33, s44, s35
	s_mul_hi_u32 s35, s44, s34
	s_add_i32 s33, s35, s33
	s_mul_i32 s35, s45, s34
	s_add_i32 s35, s33, s35
	s_mul_i32 s33, s0, s45
	s_mul_hi_u32 s43, s0, s44
	s_load_dwordx2 s[46:47], s[38:39], 0x0
	s_add_i32 s33, s43, s33
	s_mul_i32 s43, s1, s44
	s_add_i32 s33, s33, s43
	s_mul_i32 s43, s0, s44
	s_sub_u32 s43, s4, s43
	s_subb_u32 s33, s5, s33
	s_waitcnt lgkmcnt(0)
	s_mul_i32 s4, s46, s33
	s_mul_hi_u32 s5, s46, s43
	s_mul_i32 s34, s44, s34
	s_add_i32 s44, s5, s4
	s_load_dwordx2 s[4:5], s[36:37], 0x0
	s_mul_i32 s45, s47, s43
	s_add_i32 s45, s44, s45
	s_mul_i32 s44, s46, s43
	v_lshl_add_u64 v[2:3], s[44:45], 0, v[2:3]
	s_waitcnt lgkmcnt(0)
	s_mul_i32 s33, s4, s33
	s_mul_hi_u32 s44, s4, s43
	s_add_i32 s33, s44, s33
	s_mul_i32 s5, s5, s43
	s_add_i32 s5, s33, s5
	s_add_u32 s40, s40, 1
	s_addc_u32 s41, s41, 0
	s_add_u32 s36, s36, 8
	s_addc_u32 s37, s37, 0
	;; [unrolled: 2-line block ×3, first 2 shown]
	s_mul_i32 s4, s4, s43
	s_add_u32 s8, s8, 8
	v_cmp_ge_u64_e32 vcc, s[40:41], v[4:5]
	v_lshl_add_u64 v[42:43], s[4:5], 0, v[42:43]
	s_addc_u32 s9, s9, 0
	s_mov_b64 s[4:5], s[0:1]
	s_cbranch_vccnz .LBB0_12
.LBB0_8:                                ; =>This Inner Loop Header: Depth=1
	s_load_dwordx2 s[44:45], s[8:9], 0x0
	s_waitcnt lgkmcnt(0)
	s_or_b64 s[0:1], s[4:5], s[44:45]
	s_mov_b32 s43, s1
	s_cmp_lg_u64 s[42:43], 0
	s_cbranch_scc0 .LBB0_10
; %bb.9:                                ;   in Loop: Header=BB0_8 Depth=1
	v_cvt_f32_u32_e32 v1, s44
	v_cvt_f32_u32_e32 v6, s45
	s_sub_u32 s0, 0, s44
	s_subb_u32 s1, 0, s45
	v_fmac_f32_e32 v1, 0x4f800000, v6
	v_rcp_f32_e32 v1, v1
	s_nop 0
	v_mul_f32_e32 v1, 0x5f7ffffc, v1
	v_mul_f32_e32 v6, 0x2f800000, v1
	v_trunc_f32_e32 v6, v6
	v_fmac_f32_e32 v1, 0xcf800000, v6
	v_cvt_u32_f32_e32 v6, v6
	v_cvt_u32_f32_e32 v1, v1
	v_readfirstlane_b32 s33, v6
	v_readfirstlane_b32 s43, v1
	s_mul_i32 s46, s0, s33
	s_mul_hi_u32 s48, s0, s43
	s_mul_i32 s47, s1, s43
	s_add_i32 s46, s48, s46
	s_mul_i32 s49, s0, s43
	s_add_i32 s46, s46, s47
	s_mul_hi_u32 s47, s43, s46
	s_mul_i32 s48, s43, s46
	s_mul_hi_u32 s43, s43, s49
	s_add_u32 s43, s43, s48
	s_addc_u32 s47, 0, s47
	s_mul_hi_u32 s50, s33, s49
	s_mul_i32 s49, s33, s49
	s_add_u32 s43, s43, s49
	s_mul_hi_u32 s48, s33, s46
	s_addc_u32 s43, s47, s50
	s_addc_u32 s47, s48, 0
	s_mul_i32 s46, s33, s46
	s_add_u32 s43, s43, s46
	s_addc_u32 s46, 0, s47
	v_add_co_u32_e32 v1, vcc, s43, v1
	s_cmp_lg_u64 vcc, 0
	s_addc_u32 s33, s33, s46
	v_readfirstlane_b32 s46, v1
	s_mul_i32 s43, s0, s33
	s_mul_hi_u32 s47, s0, s46
	s_add_i32 s43, s47, s43
	s_mul_i32 s1, s1, s46
	s_add_i32 s43, s43, s1
	s_mul_i32 s0, s0, s46
	s_mul_hi_u32 s47, s33, s0
	s_mul_i32 s48, s33, s0
	s_mul_i32 s50, s46, s43
	s_mul_hi_u32 s0, s46, s0
	s_mul_hi_u32 s49, s46, s43
	s_add_u32 s0, s0, s50
	s_addc_u32 s46, 0, s49
	s_add_u32 s0, s0, s48
	s_mul_hi_u32 s1, s33, s43
	s_addc_u32 s0, s46, s47
	s_addc_u32 s1, s1, 0
	s_mul_i32 s43, s33, s43
	s_add_u32 s0, s0, s43
	s_addc_u32 s1, 0, s1
	v_add_co_u32_e32 v1, vcc, s0, v1
	s_cmp_lg_u64 vcc, 0
	s_addc_u32 s0, s33, s1
	v_readfirstlane_b32 s43, v1
	s_mul_i32 s33, s4, s0
	s_mul_hi_u32 s46, s4, s43
	s_mul_hi_u32 s1, s4, s0
	s_add_u32 s33, s46, s33
	s_addc_u32 s1, 0, s1
	s_mul_hi_u32 s47, s5, s43
	s_mul_i32 s43, s5, s43
	s_add_u32 s33, s33, s43
	s_mul_hi_u32 s46, s5, s0
	s_addc_u32 s1, s1, s47
	s_addc_u32 s33, s46, 0
	s_mul_i32 s0, s5, s0
	s_add_u32 s43, s1, s0
	s_addc_u32 s33, 0, s33
	s_mul_i32 s0, s44, s33
	s_mul_hi_u32 s1, s44, s43
	s_add_i32 s0, s1, s0
	s_mul_i32 s1, s45, s43
	s_add_i32 s46, s0, s1
	s_mul_i32 s1, s44, s43
	v_mov_b32_e32 v1, s1
	s_sub_i32 s0, s5, s46
	v_sub_co_u32_e32 v1, vcc, s4, v1
	s_cmp_lg_u64 vcc, 0
	s_subb_u32 s47, s0, s45
	v_subrev_co_u32_e64 v6, s[0:1], s44, v1
	s_cmp_lg_u64 s[0:1], 0
	s_subb_u32 s0, s47, 0
	s_cmp_ge_u32 s0, s45
	v_readfirstlane_b32 s47, v6
	s_cselect_b32 s1, -1, 0
	s_cmp_ge_u32 s47, s44
	s_cselect_b32 s47, -1, 0
	s_cmp_eq_u32 s0, s45
	s_cselect_b32 s0, s47, s1
	s_add_u32 s1, s43, 1
	s_addc_u32 s47, s33, 0
	s_add_u32 s48, s43, 2
	s_addc_u32 s49, s33, 0
	s_cmp_lg_u32 s0, 0
	s_cselect_b32 s0, s48, s1
	s_cselect_b32 s1, s49, s47
	s_cmp_lg_u64 vcc, 0
	s_subb_u32 s46, s5, s46
	s_cmp_ge_u32 s46, s45
	v_readfirstlane_b32 s48, v1
	s_cselect_b32 s47, -1, 0
	s_cmp_ge_u32 s48, s44
	s_cselect_b32 s48, -1, 0
	s_cmp_eq_u32 s46, s45
	s_cselect_b32 s46, s48, s47
	s_cmp_lg_u32 s46, 0
	s_cselect_b32 s1, s1, s33
	s_cselect_b32 s0, s0, s43
	s_cbranch_execnz .LBB0_7
	s_branch .LBB0_11
.LBB0_10:                               ;   in Loop: Header=BB0_8 Depth=1
                                        ; implicit-def: $sgpr0_sgpr1
.LBB0_11:                               ;   in Loop: Header=BB0_8 Depth=1
	v_cvt_f32_u32_e32 v1, s44
	s_sub_i32 s0, 0, s44
	v_rcp_iflag_f32_e32 v1, v1
	s_nop 0
	v_mul_f32_e32 v1, 0x4f7ffffe, v1
	v_cvt_u32_f32_e32 v1, v1
	s_nop 0
	v_readfirstlane_b32 s1, v1
	s_mul_i32 s0, s0, s1
	s_mul_hi_u32 s0, s1, s0
	s_add_i32 s1, s1, s0
	s_mul_hi_u32 s0, s4, s1
	s_mul_i32 s33, s0, s44
	s_sub_i32 s33, s4, s33
	s_add_i32 s1, s0, 1
	s_sub_i32 s43, s33, s44
	s_cmp_ge_u32 s33, s44
	s_cselect_b32 s0, s1, s0
	s_cselect_b32 s33, s43, s33
	s_add_i32 s1, s0, 1
	s_cmp_ge_u32 s33, s44
	s_cselect_b32 s0, s1, s0
	s_mov_b32 s1, s42
	s_branch .LBB0_7
.LBB0_12:
	v_mov_b64_e32 v[4:5], s[34:35]
	v_cmp_lt_u64_e32 vcc, s[2:3], v[4:5]
	s_mov_b64 s[4:5], 0
	s_cbranch_vccnz .LBB0_14
; %bb.13:
	v_cvt_f32_u32_e32 v1, s34
	s_sub_i32 s0, 0, s34
	v_rcp_iflag_f32_e32 v1, v1
	s_nop 0
	v_mul_f32_e32 v1, 0x4f7ffffe, v1
	v_cvt_u32_f32_e32 v1, v1
	s_nop 0
	v_readfirstlane_b32 s1, v1
	s_mul_i32 s0, s0, s1
	s_mul_hi_u32 s0, s1, s0
	s_add_i32 s1, s1, s0
	s_mul_hi_u32 s0, s2, s1
	s_mul_i32 s3, s0, s34
	s_sub_i32 s2, s2, s3
	s_add_i32 s1, s0, 1
	s_sub_i32 s3, s2, s34
	s_cmp_ge_u32 s2, s34
	s_cselect_b32 s0, s1, s0
	s_cselect_b32 s2, s3, s2
	s_add_i32 s1, s0, 1
	s_cmp_ge_u32 s2, s34
	s_cselect_b32 s4, s1, s0
.LBB0_14:
	s_lshl_b64 s[0:1], s[6:7], 3
	s_add_u32 s2, s10, s0
	s_addc_u32 s3, s11, s1
	s_load_dwordx2 s[2:3], s[2:3], 0x0
	v_mov_b64_e32 v[4:5], s[26:27]
	v_lshrrev_b32_e32 v52, 4, v0
	v_and_b32_e32 v1, 15, v0
	v_or_b32_e32 v56, 8, v52
	s_waitcnt lgkmcnt(0)
	s_mul_i32 s3, s3, s4
	s_mul_hi_u32 s5, s2, s4
	s_add_i32 s3, s5, s3
	s_add_u32 s6, s30, s0
	s_addc_u32 s7, s31, s1
	s_add_u32 s0, s28, 16
	s_addc_u32 s1, s29, 0
	s_mul_i32 s2, s2, s4
	v_cmp_le_u64_e32 vcc, s[0:1], v[4:5]
	s_movk_i32 s0, 0x80
	v_lshl_add_u64 v[2:3], s[2:3], 0, v[2:3]
	v_cmp_gt_u32_e64 s[2:3], s0, v0
	s_and_b64 s[8:9], s[2:3], vcc
	v_lshlrev_b64 v[46:47], 4, v[2:3]
	v_or_b32_e32 v55, 16, v52
	v_or_b32_e32 v54, 24, v52
	v_or_b32_e32 v53, 32, v52
	v_or_b32_e32 v51, 40, v52
	v_or_b32_e32 v50, 48, v52
	v_or_b32_e32 v49, 56, v52
	v_or_b32_e32 v48, 64, v52
                                        ; implicit-def: $vgpr8_vgpr9
                                        ; implicit-def: $vgpr20_vgpr21
                                        ; implicit-def: $vgpr24_vgpr25
                                        ; implicit-def: $vgpr32_vgpr33
                                        ; implicit-def: $vgpr36_vgpr37
                                        ; implicit-def: $vgpr40_vgpr41
                                        ; implicit-def: $vgpr28_vgpr29
                                        ; implicit-def: $vgpr16_vgpr17
                                        ; implicit-def: $vgpr12_vgpr13
                                        ; implicit-def: $vgpr4_vgpr5
	s_and_saveexec_b64 s[0:1], s[8:9]
	s_cbranch_execz .LBB0_16
; %bb.15:
	v_mad_u64_u32 v[2:3], s[8:9], s18, v1, 0
	v_mov_b32_e32 v4, v3
	v_mad_u64_u32 v[4:5], s[8:9], s19, v1, v[4:5]
	v_mov_b32_e32 v3, v4
	;; [unrolled: 2-line block ×4, first 2 shown]
	v_lshl_add_u64 v[6:7], s[24:25], 0, v[46:47]
	v_lshl_add_u64 v[34:35], v[2:3], 4, v[6:7]
	v_mad_u64_u32 v[2:3], s[8:9], s16, v56, 0
	v_lshl_add_u64 v[10:11], v[4:5], 4, v[34:35]
	v_mov_b32_e32 v4, v3
	v_mad_u64_u32 v[4:5], s[8:9], s17, v56, v[4:5]
	v_mov_b32_e32 v3, v4
	v_lshl_add_u64 v[12:13], v[2:3], 4, v[34:35]
	global_load_dwordx4 v[2:5], v[10:11], off
	global_load_dwordx4 v[6:9], v[12:13], off
	v_mad_u64_u32 v[10:11], s[8:9], s16, v55, 0
	v_mov_b32_e32 v12, v11
	v_mad_u64_u32 v[12:13], s[8:9], s17, v55, v[12:13]
	v_mov_b32_e32 v11, v12
	v_lshl_add_u64 v[14:15], v[10:11], 4, v[34:35]
	v_mad_u64_u32 v[10:11], s[8:9], s16, v54, 0
	v_mov_b32_e32 v12, v11
	v_mad_u64_u32 v[12:13], s[8:9], s17, v54, v[12:13]
	v_mov_b32_e32 v11, v12
	v_lshl_add_u64 v[16:17], v[10:11], 4, v[34:35]
	global_load_dwordx4 v[10:13], v[14:15], off
	global_load_dwordx4 v[18:21], v[16:17], off
	v_mad_u64_u32 v[14:15], s[8:9], s16, v53, 0
	v_mov_b32_e32 v16, v15
	v_mad_u64_u32 v[16:17], s[8:9], s17, v53, v[16:17]
	v_mov_b32_e32 v15, v16
	v_lshl_add_u64 v[26:27], v[14:15], 4, v[34:35]
	v_mad_u64_u32 v[14:15], s[8:9], s16, v51, 0
	;; [unrolled: 12-line block ×3, first 2 shown]
	v_mov_b32_e32 v28, v27
	v_mad_u64_u32 v[28:29], s[8:9], s17, v49, v[28:29]
	v_mov_b32_e32 v27, v28
	v_lshl_add_u64 v[38:39], v[26:27], 4, v[34:35]
	global_load_dwordx4 v[30:33], v[36:37], off
	global_load_dwordx4 v[26:29], v[38:39], off
	v_mad_u64_u32 v[36:37], s[8:9], s16, v48, 0
	v_mov_b32_e32 v38, v37
	v_mad_u64_u32 v[38:39], s[8:9], s17, v48, v[38:39]
	v_mov_b32_e32 v37, v38
	v_or_b32_e32 v39, 0x48, v52
	v_lshl_add_u64 v[44:45], v[36:37], 4, v[34:35]
	v_mad_u64_u32 v[36:37], s[8:9], s16, v39, 0
	v_mov_b32_e32 v38, v37
	v_mad_u64_u32 v[38:39], s[8:9], s17, v39, v[38:39]
	v_mov_b32_e32 v37, v38
	v_lshl_add_u64 v[58:59], v[36:37], 4, v[34:35]
	global_load_dwordx4 v[38:41], v[44:45], off
	global_load_dwordx4 v[34:37], v[58:59], off
.LBB0_16:
	s_or_b64 exec, exec, s[0:1]
	v_mov_b32_e32 v45, s29
	v_or_b32_e32 v44, s28, v1
	v_cmp_gt_u64_e64 s[0:1], s[26:27], v[44:45]
	s_xor_b64 s[8:9], vcc, -1
	s_and_b64 s[10:11], s[2:3], s[0:1]
	s_and_b64 s[10:11], s[8:9], s[10:11]
	s_and_saveexec_b64 s[8:9], s[10:11]
	s_cbranch_execz .LBB0_18
; %bb.17:
	s_waitcnt vmcnt(9)
	v_mad_u64_u32 v[2:3], s[10:11], s18, v1, 0
	v_mov_b32_e32 v4, v3
	v_mad_u64_u32 v[4:5], s[10:11], s19, v1, v[4:5]
	v_mov_b32_e32 v3, v4
	v_mad_u64_u32 v[4:5], s[10:11], s16, v52, 0
	s_waitcnt vmcnt(8)
	v_mov_b32_e32 v6, v5
	v_mad_u64_u32 v[6:7], s[10:11], s17, v52, v[6:7]
	v_mov_b32_e32 v5, v6
	v_lshl_add_u64 v[6:7], s[24:25], 0, v[46:47]
	s_waitcnt vmcnt(0)
	v_lshl_add_u64 v[34:35], v[2:3], 4, v[6:7]
	v_mad_u64_u32 v[2:3], s[10:11], s16, v56, 0
	v_lshl_add_u64 v[10:11], v[4:5], 4, v[34:35]
	v_mov_b32_e32 v4, v3
	v_mad_u64_u32 v[4:5], s[10:11], s17, v56, v[4:5]
	v_mov_b32_e32 v3, v4
	v_lshl_add_u64 v[12:13], v[2:3], 4, v[34:35]
	global_load_dwordx4 v[2:5], v[10:11], off
	global_load_dwordx4 v[6:9], v[12:13], off
	v_mad_u64_u32 v[10:11], s[10:11], s16, v55, 0
	v_mov_b32_e32 v12, v11
	v_mad_u64_u32 v[12:13], s[10:11], s17, v55, v[12:13]
	v_mov_b32_e32 v11, v12
	v_lshl_add_u64 v[14:15], v[10:11], 4, v[34:35]
	v_mad_u64_u32 v[10:11], s[10:11], s16, v54, 0
	v_mov_b32_e32 v12, v11
	v_mad_u64_u32 v[12:13], s[10:11], s17, v54, v[12:13]
	v_mov_b32_e32 v11, v12
	v_lshl_add_u64 v[16:17], v[10:11], 4, v[34:35]
	global_load_dwordx4 v[10:13], v[14:15], off
	global_load_dwordx4 v[18:21], v[16:17], off
	v_mad_u64_u32 v[14:15], s[10:11], s16, v53, 0
	v_mov_b32_e32 v16, v15
	v_mad_u64_u32 v[16:17], s[10:11], s17, v53, v[16:17]
	v_mov_b32_e32 v15, v16
	v_lshl_add_u64 v[26:27], v[14:15], 4, v[34:35]
	v_mad_u64_u32 v[14:15], s[10:11], s16, v51, 0
	;; [unrolled: 12-line block ×3, first 2 shown]
	v_mov_b32_e32 v28, v27
	v_mad_u64_u32 v[28:29], s[10:11], s17, v49, v[28:29]
	v_mov_b32_e32 v27, v28
	v_lshl_add_u64 v[38:39], v[26:27], 4, v[34:35]
	global_load_dwordx4 v[30:33], v[36:37], off
	global_load_dwordx4 v[26:29], v[38:39], off
	v_mad_u64_u32 v[36:37], s[10:11], s16, v48, 0
	v_mov_b32_e32 v38, v37
	v_mad_u64_u32 v[38:39], s[10:11], s17, v48, v[38:39]
	v_mov_b32_e32 v37, v38
	v_or_b32_e32 v39, 0x48, v52
	v_lshl_add_u64 v[46:47], v[36:37], 4, v[34:35]
	v_mad_u64_u32 v[36:37], s[10:11], s16, v39, 0
	v_mov_b32_e32 v38, v37
	v_mad_u64_u32 v[38:39], s[10:11], s17, v39, v[38:39]
	v_mov_b32_e32 v37, v38
	v_lshl_add_u64 v[48:49], v[36:37], 4, v[34:35]
	global_load_dwordx4 v[38:41], v[46:47], off
	global_load_dwordx4 v[34:37], v[48:49], off
.LBB0_18:
	s_or_b64 exec, exec, s[8:9]
	v_lshlrev_b32_e32 v53, 4, v1
	s_and_saveexec_b64 s[8:9], s[2:3]
	s_cbranch_execz .LBB0_20
; %bb.19:
	s_waitcnt vmcnt(5)
	v_add_f64 v[46:47], v[12:13], -v[24:25]
	s_waitcnt vmcnt(1)
	v_add_f64 v[48:49], v[40:41], -v[32:33]
	v_add_f64 v[50:51], v[48:49], v[46:47]
	v_add_f64 v[46:47], v[18:19], -v[14:15]
	s_waitcnt vmcnt(0)
	v_add_f64 v[48:49], v[34:35], -v[26:27]
	v_add_f64 v[54:55], v[48:49], v[46:47]
	v_add_f64 v[48:49], v[20:21], -v[16:17]
	v_add_f64 v[56:57], v[36:37], -v[28:29]
	v_add_f64 v[56:57], v[56:57], v[48:49]
	v_add_f64 v[48:49], v[28:29], v[16:17]
	;; [unrolled: 1-line block ×3, first 2 shown]
	v_fma_f64 v[48:49], -0.5, v[48:49], v[8:9]
	v_fma_f64 v[64:65], -0.5, v[64:65], v[8:9]
	v_add_f64 v[8:9], v[8:9], v[20:21]
	v_add_f64 v[66:67], v[20:21], -v[36:37]
	v_add_f64 v[20:21], v[16:17], -v[20:21]
	;; [unrolled: 1-line block ×3, first 2 shown]
	v_add_f64 v[20:21], v[68:69], v[20:21]
	s_mov_b32 s16, 0x134454ff
	v_add_f64 v[68:69], v[40:41], v[12:13]
	v_add_f64 v[58:59], v[24:25], -v[12:13]
	v_add_f64 v[60:61], v[32:33], -v[40:41]
	s_mov_b32 s17, 0xbfee6f0e
	s_mov_b32 s2, 0x4755a5e
	;; [unrolled: 1-line block ×4, first 2 shown]
	v_fma_f64 v[68:69], -0.5, v[68:69], v[4:5]
	v_add_f64 v[72:73], v[22:23], -v[30:31]
	v_add_f64 v[58:59], v[60:61], v[58:59]
	v_add_f64 v[60:61], v[14:15], -v[18:19]
	v_add_f64 v[62:63], v[26:27], -v[34:35]
	s_mov_b32 s3, 0xbfe2cf23
	s_mov_b32 s10, 0x372fe950
	;; [unrolled: 1-line block ×4, first 2 shown]
	v_add_f64 v[70:71], v[10:11], -v[38:39]
	v_fma_f64 v[74:75], s[18:19], v[72:73], v[68:69]
	v_fmac_f64_e32 v[68:69], s[16:17], v[72:73]
	v_add_f64 v[60:61], v[62:63], v[60:61]
	v_add_f64 v[62:63], v[18:19], v[34:35]
	s_mov_b32 s11, 0x3fd3c6ef
	v_fmac_f64_e32 v[74:75], s[2:3], v[70:71]
	v_fmac_f64_e32 v[68:69], s[24:25], v[70:71]
	v_fma_f64 v[62:63], -0.5, v[62:63], v[6:7]
	v_fmac_f64_e32 v[74:75], s[10:11], v[58:59]
	v_fmac_f64_e32 v[68:69], s[10:11], v[58:59]
	v_add_f64 v[58:59], v[16:17], -v[28:29]
	v_fma_f64 v[76:77], s[16:17], v[58:59], v[62:63]
	v_fmac_f64_e32 v[62:63], s[18:19], v[58:59]
	v_fmac_f64_e32 v[76:77], s[24:25], v[66:67]
	;; [unrolled: 1-line block ×3, first 2 shown]
	v_add_f64 v[46:47], v[26:27], v[14:15]
	v_fmac_f64_e32 v[76:77], s[10:11], v[60:61]
	v_fmac_f64_e32 v[62:63], s[10:11], v[60:61]
	v_add_f64 v[60:61], v[14:15], -v[26:27]
	v_fma_f64 v[46:47], -0.5, v[46:47], v[6:7]
	v_add_f64 v[6:7], v[6:7], v[18:19]
	v_add_f64 v[18:19], v[18:19], -v[34:35]
	v_fma_f64 v[78:79], s[18:19], v[60:61], v[64:65]
	v_fmac_f64_e32 v[64:65], s[16:17], v[60:61]
	v_fmac_f64_e32 v[78:79], s[2:3], v[18:19]
	;; [unrolled: 1-line block ×5, first 2 shown]
	v_add_f64 v[20:21], v[24:25], v[32:33]
	v_fma_f64 v[80:81], -0.5, v[20:21], v[4:5]
	v_fma_f64 v[20:21], s[16:17], v[70:71], v[80:81]
	v_fmac_f64_e32 v[80:81], s[18:19], v[70:71]
	v_fmac_f64_e32 v[20:21], s[2:3], v[72:73]
	v_fmac_f64_e32 v[80:81], s[24:25], v[72:73]
	v_fmac_f64_e32 v[20:21], s[10:11], v[50:51]
	v_fmac_f64_e32 v[80:81], s[10:11], v[50:51]
	v_fma_f64 v[50:51], s[18:19], v[66:67], v[46:47]
	v_fmac_f64_e32 v[46:47], s[16:17], v[66:67]
	v_fmac_f64_e32 v[50:51], s[24:25], v[58:59]
	v_fmac_f64_e32 v[46:47], s[2:3], v[58:59]
	v_fmac_f64_e32 v[50:51], s[10:11], v[54:55]
	v_fmac_f64_e32 v[46:47], s[10:11], v[54:55]
	;; [unrolled: 6-line block ×3, first 2 shown]
	v_add_f64 v[18:19], v[10:11], -v[22:23]
	v_add_f64 v[56:57], v[38:39], -v[30:31]
	v_add_f64 v[18:19], v[56:57], v[18:19]
	v_add_f64 v[56:57], v[22:23], v[30:31]
	;; [unrolled: 1-line block ×3, first 2 shown]
	v_fma_f64 v[56:57], -0.5, v[56:57], v[2:3]
	v_fma_f64 v[58:59], -0.5, v[58:59], v[2:3]
	v_add_f64 v[2:3], v[10:11], v[2:3]
	v_add_f64 v[10:11], v[22:23], -v[10:11]
	v_add_f64 v[2:3], v[22:23], v[2:3]
	v_add_f64 v[22:23], v[24:25], -v[32:33]
	;; [unrolled: 2-line block ×3, first 2 shown]
	s_mov_b32 s26, 0x9b97f4a8
	v_add_f64 v[2:3], v[30:31], v[2:3]
	v_add_f64 v[30:31], v[30:31], -v[38:39]
	v_fma_f64 v[60:61], s[16:17], v[22:23], v[58:59]
	v_fmac_f64_e32 v[58:59], s[18:19], v[22:23]
	v_add_f64 v[4:5], v[24:25], v[4:5]
	s_mov_b32 s27, 0xbfe9e377
	v_add_f64 v[10:11], v[30:31], v[10:11]
	v_fmac_f64_e32 v[60:61], s[24:25], v[12:13]
	v_fmac_f64_e32 v[58:59], s[2:3], v[12:13]
	v_add_f64 v[38:39], v[38:39], v[2:3]
	v_add_f64 v[2:3], v[8:9], v[16:17]
	;; [unrolled: 1-line block ×3, first 2 shown]
	v_mul_f64 v[24:25], v[54:55], s[26:27]
	v_mul_f64 v[54:55], v[54:55], s[2:3]
	v_add_f64 v[4:5], v[32:33], v[4:5]
	s_mov_b32 s29, 0xbfd3c6ef
	s_mov_b32 s28, s10
	v_fmac_f64_e32 v[60:61], s[10:11], v[10:11]
	v_fmac_f64_e32 v[58:59], s[10:11], v[10:11]
	v_mul_f64 v[32:33], v[64:65], s[10:11]
	v_mul_f64 v[64:65], v[64:65], s[16:17]
	v_fma_f64 v[10:11], s[18:19], v[12:13], v[56:57]
	v_fmac_f64_e32 v[56:57], s[16:17], v[12:13]
	v_add_f64 v[2:3], v[28:29], v[2:3]
	v_add_f64 v[6:7], v[26:27], v[6:7]
	v_mul_u32_u24_e32 v45, 0xa0, v52
	v_fmac_f64_e32 v[24:25], s[24:25], v[50:51]
	v_fmac_f64_e32 v[54:55], s[26:27], v[50:51]
	v_mul_f64 v[30:31], v[78:79], s[28:29]
	v_mul_f64 v[50:51], v[78:79], s[16:17]
	v_fmac_f64_e32 v[32:33], s[18:19], v[62:63]
	v_fmac_f64_e32 v[64:65], s[10:11], v[62:63]
	;; [unrolled: 1-line block ×4, first 2 shown]
	v_add_f64 v[40:41], v[40:41], v[4:5]
	v_mul_f64 v[26:27], v[46:47], s[24:25]
	s_mov_b32 s27, 0x3fe9e377
	v_add_f64 v[62:63], v[36:37], v[2:3]
	v_add_f64 v[66:67], v[34:35], v[6:7]
	v_mul_f64 v[34:35], v[48:49], s[2:3]
	v_lshlrev_b32_e32 v45, 4, v45
	v_fmac_f64_e32 v[30:31], s[18:19], v[76:77]
	v_fmac_f64_e32 v[50:51], s[28:29], v[76:77]
	v_add_f64 v[4:5], v[20:21], -v[24:25]
	v_fmac_f64_e32 v[10:11], s[10:11], v[18:19]
	v_fmac_f64_e32 v[56:57], s[10:11], v[18:19]
	;; [unrolled: 1-line block ×3, first 2 shown]
	v_add_f64 v[20:21], v[20:21], v[24:25]
	v_add_f64 v[24:25], v[40:41], -v[62:63]
	v_fmac_f64_e32 v[34:35], s[26:27], v[46:47]
	v_add_f64 v[22:23], v[38:39], -v[66:67]
	v_add_f64 v[40:41], v[62:63], v[40:41]
	v_add_f64 v[38:39], v[66:67], v[38:39]
	v_add3_u32 v45, 0, v45, v53
	v_add_f64 v[8:9], v[74:75], -v[30:31]
	v_add_f64 v[12:13], v[68:69], -v[32:33]
	;; [unrolled: 1-line block ×4, first 2 shown]
	v_add_f64 v[18:19], v[10:11], v[54:55]
	v_add_f64 v[6:7], v[60:61], -v[50:51]
	v_add_f64 v[10:11], v[58:59], -v[64:65]
	;; [unrolled: 1-line block ×3, first 2 shown]
	v_add_f64 v[28:29], v[74:75], v[30:31]
	v_add_f64 v[32:33], v[68:69], v[32:33]
	;; [unrolled: 1-line block ×6, first 2 shown]
	ds_write_b128 v45, v[38:41]
	ds_write_b128 v45, v[34:37] offset:256
	ds_write_b128 v45, v[30:33] offset:512
	;; [unrolled: 1-line block ×9, first 2 shown]
.LBB0_20:
	s_or_b64 exec, exec, s[8:9]
	s_or_b64 s[0:1], vcc, s[0:1]
	s_waitcnt lgkmcnt(0)
	s_barrier
	s_and_saveexec_b64 s[2:3], s[0:1]
	s_cbranch_execz .LBB0_22
; %bb.21:
	s_mov_b32 s0, 0x1999999a
	s_waitcnt vmcnt(9)
	v_mul_hi_u32 v2, v52, s0
	v_mul_u32_u24_e32 v2, 10, v2
	v_sub_u32_e32 v45, v52, v2
	v_mul_u32_u24_e32 v2, 7, v45
	s_waitcnt vmcnt(3)
	v_lshlrev_b32_e32 v30, 4, v2
	global_load_dwordx4 v[2:5], v30, s[22:23] offset:48
	global_load_dwordx4 v[6:9], v30, s[22:23] offset:16
	global_load_dwordx4 v[10:13], v30, s[22:23]
	global_load_dwordx4 v[14:17], v30, s[22:23] offset:80
	global_load_dwordx4 v[18:21], v30, s[22:23] offset:64
	;; [unrolled: 1-line block ×4, first 2 shown]
	v_add_u32_e32 v66, 0x46, v45
	v_mul_lo_u32 v66, v66, v44
	v_mul_lo_u32 v88, v44, -10
	v_lshrrev_b32_e32 v67, 8, v66
	v_lshrrev_b32_e32 v69, 2, v66
	v_lshlrev_b32_e32 v30, 8, v52
	s_add_i32 s5, 0, 0x5000
	v_and_b32_e32 v68, 63, v66
	v_add_u32_e32 v89, v66, v88
	v_and_b32_e32 v66, 0x3f0, v67
	v_and_b32_e32 v67, 0x3f0, v69
	v_add3_u32 v62, 0, v30, v53
	v_lshl_add_u32 v70, v68, 4, 0
	v_add_u32_e32 v66, s5, v66
	v_add_u32_e32 v74, s5, v67
	s_load_dwordx2 s[0:1], s[6:7], 0x0
	ds_read_b128 v[30:33], v62
	s_waitcnt vmcnt(7)
	ds_read_b128 v[34:37], v62 offset:2560
	ds_read_b128 v[38:41], v62 offset:10240
	;; [unrolled: 1-line block ×10, first 2 shown]
	v_lshrrev_b32_e32 v78, 8, v89
	v_and_b32_e32 v78, 0x3f0, v78
	v_add_u32_e32 v78, s5, v78
	ds_read_b128 v[78:81], v78 offset:2048
	s_waitcnt lgkmcnt(0)
	v_mul_f64 v[82:83], v[72:73], v[76:77]
	v_mul_f64 v[76:77], v[70:71], v[76:77]
	v_fma_f64 v[70:71], v[70:71], v[74:75], -v[82:83]
	v_fmac_f64_e32 v[76:77], v[72:73], v[74:75]
	v_mul_f64 v[72:73], v[76:77], v[68:69]
	v_fma_f64 v[72:73], v[66:67], v[70:71], -v[72:73]
	s_mov_b32 s2, 0x667f3bcd
	s_mov_b32 s3, 0x3fe6a09e
	;; [unrolled: 1-line block ×4, first 2 shown]
	v_mul_lo_u32 v44, v45, v44
	s_mul_i32 s1, s1, s4
	s_mul_hi_u32 s8, s0, s4
	s_mul_i32 s0, s0, s4
	s_add_i32 s1, s8, s1
	s_lshl_b64 s[0:1], s[0:1], 4
	s_add_u32 s0, s20, s0
	s_addc_u32 s1, s21, s1
	s_waitcnt vmcnt(6)
	v_mul_f64 v[74:75], v[38:39], v[4:5]
	v_mul_f64 v[4:5], v[40:41], v[4:5]
	s_waitcnt vmcnt(5)
	v_mul_f64 v[82:83], v[52:53], v[8:9]
	v_fma_f64 v[40:41], v[40:41], v[2:3], -v[74:75]
	v_fmac_f64_e32 v[4:5], v[38:39], v[2:3]
	v_mul_f64 v[2:3], v[50:51], v[8:9]
	v_fmac_f64_e32 v[82:83], v[50:51], v[6:7]
	v_fma_f64 v[6:7], v[52:53], v[6:7], -v[2:3]
	s_waitcnt vmcnt(3)
	v_mul_f64 v[2:3], v[58:59], v[16:17]
	v_mul_f64 v[84:85], v[34:35], v[12:13]
	v_mul_f64 v[86:87], v[36:37], v[12:13]
	s_waitcnt vmcnt(2)
	v_mul_f64 v[12:13], v[46:47], v[20:21]
	v_mul_f64 v[20:21], v[48:49], v[20:21]
	v_fma_f64 v[2:3], v[60:61], v[14:15], -v[2:3]
	v_fma_f64 v[36:37], v[36:37], v[10:11], -v[84:85]
	v_fmac_f64_e32 v[86:87], v[34:35], v[10:11]
	v_mul_f64 v[10:11], v[60:61], v[16:17]
	s_waitcnt vmcnt(1)
	v_mul_f64 v[34:35], v[56:57], v[24:25]
	v_fma_f64 v[12:13], v[48:49], v[18:19], -v[12:13]
	v_fmac_f64_e32 v[20:21], v[46:47], v[18:19]
	s_waitcnt vmcnt(0)
	v_mul_f64 v[18:19], v[64:65], v[28:29]
	v_add_f64 v[40:41], v[32:33], -v[40:41]
	v_add_f64 v[8:9], v[6:7], -v[2:3]
	v_mul_f64 v[24:25], v[54:55], v[24:25]
	v_fmac_f64_e32 v[10:11], v[58:59], v[14:15]
	v_fmac_f64_e32 v[34:35], v[54:55], v[22:23]
	;; [unrolled: 1-line block ×3, first 2 shown]
	v_fma_f64 v[58:59], v[32:33], 2.0, -v[40:41]
	v_fma_f64 v[6:7], v[6:7], 2.0, -v[8:9]
	v_fma_f64 v[46:47], v[56:57], v[22:23], -v[24:25]
	v_add_f64 v[24:25], v[34:35], -v[18:19]
	v_add_f64 v[18:19], v[58:59], -v[6:7]
	v_lshrrev_b32_e32 v7, 2, v89
	v_mul_f64 v[28:29], v[62:63], v[28:29]
	v_and_b32_e32 v6, 63, v89
	v_and_b32_e32 v7, 0x3f0, v7
	v_fma_f64 v[22:23], v[64:65], v[26:27], -v[28:29]
	v_add_f64 v[26:27], v[82:83], -v[10:11]
	v_add_f64 v[38:39], v[30:31], -v[4:5]
	v_lshl_add_u32 v6, v6, 4, 0
	v_add_u32_e32 v10, s5, v7
	v_add_f64 v[48:49], v[36:37], -v[12:13]
	v_add_f64 v[54:55], v[86:87], -v[20:21]
	v_add_f64 v[20:21], v[38:39], v[8:9]
	ds_read_b128 v[6:9], v6 offset:20480
	ds_read_b128 v[10:13], v10 offset:1024
	v_mul_f64 v[2:3], v[70:71], v[68:69]
	v_fma_f64 v[60:61], v[86:87], 2.0, -v[54:55]
	v_fma_f64 v[14:15], v[34:35], 2.0, -v[24:25]
	v_fmac_f64_e32 v[2:3], v[66:67], v[76:77]
	v_add_f64 v[66:67], v[60:61], -v[14:15]
	s_waitcnt lgkmcnt(0)
	v_mul_f64 v[14:15], v[8:9], v[12:13]
	v_add_f64 v[28:29], v[46:47], -v[22:23]
	v_fma_f64 v[14:15], v[6:7], v[10:11], -v[14:15]
	v_mul_f64 v[6:7], v[6:7], v[12:13]
	v_add_f64 v[56:57], v[40:41], -v[26:27]
	v_add_f64 v[62:63], v[48:49], -v[24:25]
	v_add_f64 v[64:65], v[54:55], v[28:29]
	v_fmac_f64_e32 v[6:7], v[8:9], v[10:11]
	v_fma_f64 v[74:75], s[2:3], v[62:63], v[56:57]
	v_fma_f64 v[22:23], s[2:3], v[64:65], v[20:21]
	v_mul_f64 v[8:9], v[6:7], v[80:81]
	v_fmac_f64_e32 v[74:75], s[6:7], v[64:65]
	v_fmac_f64_e32 v[22:23], s[2:3], v[62:63]
	v_fma_f64 v[10:11], v[78:79], v[14:15], -v[8:9]
	v_fma_f64 v[68:69], v[30:31], 2.0, -v[38:39]
	v_fma_f64 v[8:9], v[82:83], 2.0, -v[26:27]
	v_mul_f64 v[4:5], v[22:23], v[2:3]
	v_mul_f64 v[2:3], v[74:75], v[2:3]
	v_add_f64 v[26:27], v[68:69], -v[8:9]
	v_fma_f64 v[70:71], v[36:37], 2.0, -v[48:49]
	v_fma_f64 v[8:9], v[46:47], 2.0, -v[28:29]
	v_fma_f64 v[4:5], v[74:75], v[72:73], -v[4:5]
	v_fmac_f64_e32 v[2:3], v[22:23], v[72:73]
	v_add_f64 v[72:73], v[70:71], -v[8:9]
	v_mul_f64 v[12:13], v[14:15], v[80:81]
	v_add_f64 v[28:29], v[26:27], v[72:73]
	v_fmac_f64_e32 v[12:13], v[78:79], v[6:7]
	v_add_f64 v[24:25], v[18:19], -v[66:67]
	v_mul_f64 v[6:7], v[28:29], v[12:13]
	v_fma_f64 v[8:9], v[24:25], v[10:11], -v[6:7]
	v_mul_f64 v[6:7], v[24:25], v[12:13]
	v_add_u32_e32 v34, v89, v88
	v_fmac_f64_e32 v[6:7], v[28:29], v[10:11]
	v_lshrrev_b32_e32 v10, 8, v34
	v_lshrrev_b32_e32 v35, 2, v34
	v_and_b32_e32 v10, 0x3f0, v10
	v_and_b32_e32 v11, 63, v34
	;; [unrolled: 1-line block ×3, first 2 shown]
	v_add_u32_e32 v10, s5, v10
	v_lshl_add_u32 v14, v11, 4, 0
	v_add_u32_e32 v35, s5, v35
	v_fma_f64 v[30:31], v[40:41], 2.0, -v[56:57]
	v_fma_f64 v[40:41], v[48:49], 2.0, -v[62:63]
	ds_read_b128 v[10:13], v10 offset:2048
	ds_read_b128 v[14:17], v14 offset:20480
	v_add_u32_e32 v62, v34, v88
	ds_read_b128 v[34:37], v35 offset:1024
	v_lshrrev_b32_e32 v48, 8, v62
	v_and_b32_e32 v48, 0x3f0, v48
	v_add_u32_e32 v48, s5, v48
	ds_read_b128 v[50:53], v48 offset:2048
	s_waitcnt lgkmcnt(1)
	v_mul_f64 v[48:49], v[16:17], v[36:37]
	v_fma_f64 v[48:49], v[14:15], v[34:35], -v[48:49]
	v_mul_f64 v[14:15], v[14:15], v[36:37]
	v_fmac_f64_e32 v[14:15], v[16:17], v[34:35]
	v_fma_f64 v[46:47], v[54:55], 2.0, -v[64:65]
	v_mul_f64 v[16:17], v[14:15], v[12:13]
	v_fma_f64 v[34:35], v[38:39], 2.0, -v[20:21]
	v_fma_f64 v[54:55], v[10:11], v[48:49], -v[16:17]
	v_fma_f64 v[36:37], s[6:7], v[46:47], v[34:35]
	v_mul_f64 v[16:17], v[48:49], v[12:13]
	v_fma_f64 v[32:33], s[6:7], v[40:41], v[30:31]
	v_fmac_f64_e32 v[36:37], s[2:3], v[40:41]
	v_fmac_f64_e32 v[16:17], v[10:11], v[14:15]
	v_and_b32_e32 v14, 63, v62
	v_lshrrev_b32_e32 v15, 2, v62
	v_fmac_f64_e32 v[32:33], s[6:7], v[46:47]
	v_mul_f64 v[10:11], v[36:37], v[16:17]
	v_lshl_add_u32 v14, v14, 4, 0
	v_and_b32_e32 v15, 0x3f0, v15
	v_fma_f64 v[12:13], v[32:33], v[54:55], -v[10:11]
	v_mul_f64 v[10:11], v[32:33], v[16:17]
	v_add_u32_e32 v38, s5, v15
	ds_read_b128 v[14:17], v14 offset:20480
	ds_read_b128 v[46:49], v38 offset:1024
	v_fmac_f64_e32 v[10:11], v[36:37], v[54:55]
	v_fma_f64 v[38:39], v[58:59], 2.0, -v[18:19]
	v_fma_f64 v[40:41], v[70:71], 2.0, -v[72:73]
	v_add_f64 v[40:41], v[38:39], -v[40:41]
	s_waitcnt lgkmcnt(0)
	v_mul_f64 v[54:55], v[16:17], v[48:49]
	v_fma_f64 v[54:55], v[14:15], v[46:47], -v[54:55]
	v_mul_f64 v[14:15], v[14:15], v[48:49]
	v_fmac_f64_e32 v[14:15], v[16:17], v[46:47]
	v_mul_f64 v[16:17], v[14:15], v[52:53]
	v_fma_f64 v[58:59], v[50:51], v[54:55], -v[16:17]
	v_fma_f64 v[46:47], v[68:69], 2.0, -v[26:27]
	v_fma_f64 v[16:17], v[60:61], 2.0, -v[66:67]
	v_mul_f64 v[52:53], v[54:55], v[52:53]
	v_add_f64 v[48:49], v[46:47], -v[16:17]
	v_fmac_f64_e32 v[52:53], v[50:51], v[14:15]
	v_mul_f64 v[14:15], v[48:49], v[52:53]
	v_fma_f64 v[16:17], v[40:41], v[58:59], -v[14:15]
	v_mul_f64 v[14:15], v[40:41], v[52:53]
	v_fmac_f64_e32 v[14:15], v[48:49], v[58:59]
	v_add_u32_e32 v58, v62, v88
	v_lshrrev_b32_e32 v50, 8, v58
	v_lshrrev_b32_e32 v59, 2, v58
	v_and_b32_e32 v50, 0x3f0, v50
	v_and_b32_e32 v51, 63, v58
	;; [unrolled: 1-line block ×3, first 2 shown]
	v_add_u32_e32 v50, s5, v50
	v_lshl_add_u32 v54, v51, 4, 0
	v_add_u32_e32 v59, s5, v59
	v_fma_f64 v[66:67], v[56:57], 2.0, -v[74:75]
	ds_read_b128 v[50:53], v50 offset:2048
	ds_read_b128 v[54:57], v54 offset:20480
	v_add_u32_e32 v70, v58, v88
	ds_read_b128 v[58:61], v59 offset:1024
	v_lshrrev_b32_e32 v62, 8, v70
	v_and_b32_e32 v62, 0x3f0, v62
	v_add_u32_e32 v62, s5, v62
	ds_read_b128 v[62:65], v62 offset:2048
	s_waitcnt lgkmcnt(1)
	v_mul_f64 v[68:69], v[56:57], v[60:61]
	v_fma_f64 v[68:69], v[54:55], v[58:59], -v[68:69]
	v_mul_f64 v[54:55], v[54:55], v[60:61]
	v_fmac_f64_e32 v[54:55], v[56:57], v[58:59]
	v_mul_f64 v[56:57], v[54:55], v[52:53]
	v_fma_f64 v[60:61], v[20:21], 2.0, -v[22:23]
	v_lshrrev_b32_e32 v21, 2, v70
	v_fma_f64 v[58:59], v[50:51], v[68:69], -v[56:57]
	v_mul_f64 v[68:69], v[68:69], v[52:53]
	v_and_b32_e32 v20, 63, v70
	v_and_b32_e32 v21, 0x3f0, v21
	v_fmac_f64_e32 v[68:69], v[50:51], v[54:55]
	v_lshl_add_u32 v20, v20, 4, 0
	v_add_u32_e32 v50, s5, v21
	ds_read_b128 v[20:23], v20 offset:20480
	ds_read_b128 v[50:53], v50 offset:1024
	v_fma_f64 v[18:19], v[18:19], 2.0, -v[24:25]
	v_mul_f64 v[54:55], v[60:61], v[68:69]
	v_fma_f64 v[26:27], v[26:27], 2.0, -v[28:29]
	v_fma_f64 v[56:57], v[66:67], v[58:59], -v[54:55]
	s_waitcnt lgkmcnt(0)
	v_mul_f64 v[24:25], v[22:23], v[52:53]
	v_fma_f64 v[24:25], v[20:21], v[50:51], -v[24:25]
	v_mul_f64 v[20:21], v[20:21], v[52:53]
	v_fmac_f64_e32 v[20:21], v[22:23], v[50:51]
	v_mul_f64 v[22:23], v[20:21], v[64:65]
	v_fma_f64 v[22:23], v[62:63], v[24:25], -v[22:23]
	v_mul_f64 v[24:25], v[24:25], v[64:65]
	v_fmac_f64_e32 v[24:25], v[62:63], v[20:21]
	v_mul_f64 v[54:55], v[66:67], v[68:69]
	v_mul_f64 v[20:21], v[26:27], v[24:25]
	v_fmac_f64_e32 v[54:55], v[60:61], v[58:59]
	v_fma_f64 v[20:21], v[18:19], v[22:23], -v[20:21]
	v_mul_f64 v[18:19], v[18:19], v[24:25]
	v_fma_f64 v[58:59], v[30:31], 2.0, -v[32:33]
	v_add_u32_e32 v30, v70, v88
	v_fmac_f64_e32 v[18:19], v[26:27], v[22:23]
	v_lshrrev_b32_e32 v22, 8, v30
	v_and_b32_e32 v23, 63, v30
	v_lshrrev_b32_e32 v30, 2, v30
	v_and_b32_e32 v22, 0x3f0, v22
	v_and_b32_e32 v30, 0x3f0, v30
	v_add_u32_e32 v22, s5, v22
	v_lshl_add_u32 v26, v23, 4, 0
	v_add_u32_e32 v30, s5, v30
	ds_read_b128 v[22:25], v22 offset:2048
	ds_read_b128 v[26:29], v26 offset:20480
	ds_read_b128 v[30:33], v30 offset:1024
	v_lshrrev_b32_e32 v50, 8, v44
	v_and_b32_e32 v50, 0x3f0, v50
	v_add_u32_e32 v50, s5, v50
	ds_read_b128 v[50:53], v50 offset:2048
	s_waitcnt lgkmcnt(1)
	v_mul_f64 v[60:61], v[28:29], v[32:33]
	v_fma_f64 v[60:61], v[26:27], v[30:31], -v[60:61]
	v_mul_f64 v[26:27], v[26:27], v[32:33]
	v_fmac_f64_e32 v[26:27], v[28:29], v[30:31]
	v_mul_f64 v[28:29], v[26:27], v[24:25]
	v_mul_f64 v[30:31], v[60:61], v[24:25]
	v_fma_f64 v[62:63], v[22:23], v[60:61], -v[28:29]
	v_fmac_f64_e32 v[30:31], v[22:23], v[26:27]
	v_lshrrev_b32_e32 v23, 2, v44
	v_and_b32_e32 v22, 63, v44
	v_and_b32_e32 v23, 0x3f0, v23
	v_lshl_add_u32 v22, v22, 4, 0
	v_add_u32_e32 v26, s5, v23
	ds_read_b128 v[22:25], v22 offset:20480
	ds_read_b128 v[26:29], v26 offset:1024
	v_fma_f64 v[34:35], v[34:35], 2.0, -v[36:37]
	v_mul_f64 v[32:33], v[34:35], v[30:31]
	v_mul_f64 v[30:31], v[58:59], v[30:31]
	v_fmac_f64_e32 v[30:31], v[34:35], v[62:63]
	s_waitcnt lgkmcnt(0)
	v_mul_f64 v[36:37], v[24:25], v[28:29]
	v_fma_f64 v[36:37], v[22:23], v[26:27], -v[36:37]
	v_mul_f64 v[22:23], v[22:23], v[28:29]
	v_fmac_f64_e32 v[22:23], v[24:25], v[26:27]
	v_mul_f64 v[24:25], v[22:23], v[52:53]
	v_fma_f64 v[26:27], v[50:51], v[36:37], -v[24:25]
	v_mul_f64 v[36:37], v[36:37], v[52:53]
	v_fma_f64 v[28:29], v[46:47], 2.0, -v[48:49]
	v_fmac_f64_e32 v[36:37], v[50:51], v[22:23]
	v_fma_f64 v[34:35], v[38:39], 2.0, -v[40:41]
	v_mul_f64 v[22:23], v[28:29], v[36:37]
	v_fma_f64 v[24:25], v[34:35], v[26:27], -v[22:23]
	v_mul_f64 v[22:23], v[34:35], v[36:37]
	v_fmac_f64_e32 v[22:23], v[28:29], v[26:27]
	v_mad_u64_u32 v[26:27], s[2:3], s14, v1, 0
	v_mov_b32_e32 v28, v27
	v_mad_u64_u32 v[28:29], s[2:3], s15, v1, v[28:29]
	s_mov_b32 s2, 0x199999a
	s_nop 0
	v_mul_hi_u32 v0, v0, s2
	v_mul_u32_u24_e32 v0, 0x50, v0
	v_or_b32_e32 v34, v0, v45
	v_mad_u64_u32 v[0:1], s[2:3], s12, v34, 0
	v_mov_b32_e32 v27, v28
	v_mov_b32_e32 v28, v1
	v_mad_u64_u32 v[28:29], s[2:3], s13, v34, v[28:29]
	v_mov_b32_e32 v1, v28
	v_lshlrev_b64 v[28:29], 4, v[42:43]
	v_lshl_add_u64 v[28:29], s[0:1], 0, v[28:29]
	v_lshl_add_u64 v[26:27], v[26:27], 4, v[28:29]
	;; [unrolled: 1-line block ×3, first 2 shown]
	global_store_dwordx4 v[0:1], v[22:25], off
	v_fma_f64 v[32:33], v[58:59], v[62:63], -v[32:33]
	s_nop 0
	v_add_u32_e32 v23, 10, v34
	v_mad_u64_u32 v[0:1], s[0:1], s12, v23, 0
	v_mov_b32_e32 v22, v1
	v_mad_u64_u32 v[22:23], s[0:1], s13, v23, v[22:23]
	v_mov_b32_e32 v1, v22
	v_lshl_add_u64 v[0:1], v[0:1], 4, v[26:27]
	v_add_u32_e32 v23, 20, v34
	global_store_dwordx4 v[0:1], v[30:33], off
	v_mad_u64_u32 v[0:1], s[0:1], s12, v23, 0
	v_mov_b32_e32 v22, v1
	v_mad_u64_u32 v[22:23], s[0:1], s13, v23, v[22:23]
	v_mov_b32_e32 v1, v22
	v_lshl_add_u64 v[0:1], v[0:1], 4, v[26:27]
	global_store_dwordx4 v[0:1], v[18:21], off
	s_nop 1
	v_add_u32_e32 v19, 30, v34
	v_mad_u64_u32 v[0:1], s[0:1], s12, v19, 0
	v_mov_b32_e32 v18, v1
	v_mad_u64_u32 v[18:19], s[0:1], s13, v19, v[18:19]
	v_mov_b32_e32 v1, v18
	v_lshl_add_u64 v[0:1], v[0:1], 4, v[26:27]
	v_add_u32_e32 v19, 40, v34
	global_store_dwordx4 v[0:1], v[54:57], off
	v_mad_u64_u32 v[0:1], s[0:1], s12, v19, 0
	v_mov_b32_e32 v18, v1
	v_mad_u64_u32 v[18:19], s[0:1], s13, v19, v[18:19]
	v_mov_b32_e32 v1, v18
	v_lshl_add_u64 v[0:1], v[0:1], 4, v[26:27]
	global_store_dwordx4 v[0:1], v[14:17], off
	s_nop 1
	v_add_u32_e32 v15, 50, v34
	v_mad_u64_u32 v[0:1], s[0:1], s12, v15, 0
	v_mov_b32_e32 v14, v1
	v_mad_u64_u32 v[14:15], s[0:1], s13, v15, v[14:15]
	v_mov_b32_e32 v1, v14
	v_lshl_add_u64 v[0:1], v[0:1], 4, v[26:27]
	global_store_dwordx4 v[0:1], v[10:13], off
	s_nop 1
	v_add_u32_e32 v11, 60, v34
	;; [unrolled: 8-line block ×3, first 2 shown]
	v_mad_u64_u32 v[0:1], s[0:1], s12, v7, 0
	v_mov_b32_e32 v6, v1
	v_mad_u64_u32 v[6:7], s[0:1], s13, v7, v[6:7]
	v_mov_b32_e32 v1, v6
	v_lshl_add_u64 v[0:1], v[0:1], 4, v[26:27]
	global_store_dwordx4 v[0:1], v[2:5], off
.LBB0_22:
	s_endpgm
	.section	.rodata,"a",@progbits
	.p2align	6, 0x0
	.amdhsa_kernel fft_rtc_back_len80_factors_10_8_wgs_160_tpt_10_dp_op_CI_CI_sbcc_twdbase6_3step_dirReg
		.amdhsa_group_segment_fixed_size 0
		.amdhsa_private_segment_fixed_size 0
		.amdhsa_kernarg_size 112
		.amdhsa_user_sgpr_count 2
		.amdhsa_user_sgpr_dispatch_ptr 0
		.amdhsa_user_sgpr_queue_ptr 0
		.amdhsa_user_sgpr_kernarg_segment_ptr 1
		.amdhsa_user_sgpr_dispatch_id 0
		.amdhsa_user_sgpr_kernarg_preload_length 0
		.amdhsa_user_sgpr_kernarg_preload_offset 0
		.amdhsa_user_sgpr_private_segment_size 0
		.amdhsa_uses_dynamic_stack 0
		.amdhsa_enable_private_segment 0
		.amdhsa_system_sgpr_workgroup_id_x 1
		.amdhsa_system_sgpr_workgroup_id_y 0
		.amdhsa_system_sgpr_workgroup_id_z 0
		.amdhsa_system_sgpr_workgroup_info 0
		.amdhsa_system_vgpr_workitem_id 0
		.amdhsa_next_free_vgpr 90
		.amdhsa_next_free_sgpr 51
		.amdhsa_accum_offset 92
		.amdhsa_reserve_vcc 1
		.amdhsa_float_round_mode_32 0
		.amdhsa_float_round_mode_16_64 0
		.amdhsa_float_denorm_mode_32 3
		.amdhsa_float_denorm_mode_16_64 3
		.amdhsa_dx10_clamp 1
		.amdhsa_ieee_mode 1
		.amdhsa_fp16_overflow 0
		.amdhsa_tg_split 0
		.amdhsa_exception_fp_ieee_invalid_op 0
		.amdhsa_exception_fp_denorm_src 0
		.amdhsa_exception_fp_ieee_div_zero 0
		.amdhsa_exception_fp_ieee_overflow 0
		.amdhsa_exception_fp_ieee_underflow 0
		.amdhsa_exception_fp_ieee_inexact 0
		.amdhsa_exception_int_div_zero 0
	.end_amdhsa_kernel
	.text
.Lfunc_end0:
	.size	fft_rtc_back_len80_factors_10_8_wgs_160_tpt_10_dp_op_CI_CI_sbcc_twdbase6_3step_dirReg, .Lfunc_end0-fft_rtc_back_len80_factors_10_8_wgs_160_tpt_10_dp_op_CI_CI_sbcc_twdbase6_3step_dirReg
                                        ; -- End function
	.section	.AMDGPU.csdata,"",@progbits
; Kernel info:
; codeLenInByte = 6416
; NumSgprs: 57
; NumVgprs: 90
; NumAgprs: 0
; TotalNumVgprs: 90
; ScratchSize: 0
; MemoryBound: 1
; FloatMode: 240
; IeeeMode: 1
; LDSByteSize: 0 bytes/workgroup (compile time only)
; SGPRBlocks: 7
; VGPRBlocks: 11
; NumSGPRsForWavesPerEU: 57
; NumVGPRsForWavesPerEU: 90
; AccumOffset: 92
; Occupancy: 5
; WaveLimiterHint : 1
; COMPUTE_PGM_RSRC2:SCRATCH_EN: 0
; COMPUTE_PGM_RSRC2:USER_SGPR: 2
; COMPUTE_PGM_RSRC2:TRAP_HANDLER: 0
; COMPUTE_PGM_RSRC2:TGID_X_EN: 1
; COMPUTE_PGM_RSRC2:TGID_Y_EN: 0
; COMPUTE_PGM_RSRC2:TGID_Z_EN: 0
; COMPUTE_PGM_RSRC2:TIDIG_COMP_CNT: 0
; COMPUTE_PGM_RSRC3_GFX90A:ACCUM_OFFSET: 22
; COMPUTE_PGM_RSRC3_GFX90A:TG_SPLIT: 0
	.text
	.p2alignl 6, 3212836864
	.fill 256, 4, 3212836864
	.type	__hip_cuid_86eae404078ed464,@object ; @__hip_cuid_86eae404078ed464
	.section	.bss,"aw",@nobits
	.globl	__hip_cuid_86eae404078ed464
__hip_cuid_86eae404078ed464:
	.byte	0                               ; 0x0
	.size	__hip_cuid_86eae404078ed464, 1

	.ident	"AMD clang version 19.0.0git (https://github.com/RadeonOpenCompute/llvm-project roc-6.4.0 25133 c7fe45cf4b819c5991fe208aaa96edf142730f1d)"
	.section	".note.GNU-stack","",@progbits
	.addrsig
	.addrsig_sym __hip_cuid_86eae404078ed464
	.amdgpu_metadata
---
amdhsa.kernels:
  - .agpr_count:     0
    .args:
      - .actual_access:  read_only
        .address_space:  global
        .offset:         0
        .size:           8
        .value_kind:     global_buffer
      - .address_space:  global
        .offset:         8
        .size:           8
        .value_kind:     global_buffer
      - .offset:         16
        .size:           8
        .value_kind:     by_value
      - .actual_access:  read_only
        .address_space:  global
        .offset:         24
        .size:           8
        .value_kind:     global_buffer
      - .actual_access:  read_only
        .address_space:  global
        .offset:         32
        .size:           8
        .value_kind:     global_buffer
      - .actual_access:  read_only
        .address_space:  global
        .offset:         40
        .size:           8
        .value_kind:     global_buffer
      - .offset:         48
        .size:           8
        .value_kind:     by_value
      - .actual_access:  read_only
        .address_space:  global
        .offset:         56
        .size:           8
        .value_kind:     global_buffer
      - .actual_access:  read_only
        .address_space:  global
        .offset:         64
        .size:           8
        .value_kind:     global_buffer
      - .offset:         72
        .size:           4
        .value_kind:     by_value
      - .actual_access:  read_only
        .address_space:  global
        .offset:         80
        .size:           8
        .value_kind:     global_buffer
      - .actual_access:  read_only
        .address_space:  global
        .offset:         88
        .size:           8
        .value_kind:     global_buffer
      - .actual_access:  read_only
        .address_space:  global
        .offset:         96
        .size:           8
        .value_kind:     global_buffer
      - .actual_access:  write_only
        .address_space:  global
        .offset:         104
        .size:           8
        .value_kind:     global_buffer
    .group_segment_fixed_size: 0
    .kernarg_segment_align: 8
    .kernarg_segment_size: 112
    .language:       OpenCL C
    .language_version:
      - 2
      - 0
    .max_flat_workgroup_size: 160
    .name:           fft_rtc_back_len80_factors_10_8_wgs_160_tpt_10_dp_op_CI_CI_sbcc_twdbase6_3step_dirReg
    .private_segment_fixed_size: 0
    .sgpr_count:     57
    .sgpr_spill_count: 0
    .symbol:         fft_rtc_back_len80_factors_10_8_wgs_160_tpt_10_dp_op_CI_CI_sbcc_twdbase6_3step_dirReg.kd
    .uniform_work_group_size: 1
    .uses_dynamic_stack: false
    .vgpr_count:     90
    .vgpr_spill_count: 0
    .wavefront_size: 64
amdhsa.target:   amdgcn-amd-amdhsa--gfx950
amdhsa.version:
  - 1
  - 2
...

	.end_amdgpu_metadata
